;; amdgpu-corpus repo=ROCm/rocFFT kind=compiled arch=gfx906 opt=O3
	.text
	.amdgcn_target "amdgcn-amd-amdhsa--gfx906"
	.amdhsa_code_object_version 6
	.protected	fft_rtc_back_len1287_factors_3_13_3_11_wgs_117_tpt_117_sp_ip_CI_unitstride_sbrr_dirReg ; -- Begin function fft_rtc_back_len1287_factors_3_13_3_11_wgs_117_tpt_117_sp_ip_CI_unitstride_sbrr_dirReg
	.globl	fft_rtc_back_len1287_factors_3_13_3_11_wgs_117_tpt_117_sp_ip_CI_unitstride_sbrr_dirReg
	.p2align	8
	.type	fft_rtc_back_len1287_factors_3_13_3_11_wgs_117_tpt_117_sp_ip_CI_unitstride_sbrr_dirReg,@function
fft_rtc_back_len1287_factors_3_13_3_11_wgs_117_tpt_117_sp_ip_CI_unitstride_sbrr_dirReg: ; @fft_rtc_back_len1287_factors_3_13_3_11_wgs_117_tpt_117_sp_ip_CI_unitstride_sbrr_dirReg
; %bb.0:
	s_load_dwordx2 s[12:13], s[4:5], 0x50
	s_load_dwordx4 s[8:11], s[4:5], 0x0
	s_load_dwordx2 s[2:3], s[4:5], 0x18
	v_mul_u32_u24_e32 v1, 0x231, v0
	v_add_u32_sdwa v5, s6, v1 dst_sel:DWORD dst_unused:UNUSED_PAD src0_sel:DWORD src1_sel:WORD_1
	v_mov_b32_e32 v3, 0
	s_waitcnt lgkmcnt(0)
	v_cmp_lt_u64_e64 s[0:1], s[10:11], 2
	v_mov_b32_e32 v1, 0
	v_mov_b32_e32 v6, v3
	s_and_b64 vcc, exec, s[0:1]
	v_mov_b32_e32 v2, 0
	s_cbranch_vccnz .LBB0_8
; %bb.1:
	s_load_dwordx2 s[0:1], s[4:5], 0x10
	s_add_u32 s6, s2, 8
	s_addc_u32 s7, s3, 0
	v_mov_b32_e32 v1, 0
	v_mov_b32_e32 v2, 0
	s_waitcnt lgkmcnt(0)
	s_add_u32 s14, s0, 8
	s_addc_u32 s15, s1, 0
	s_mov_b64 s[16:17], 1
.LBB0_2:                                ; =>This Inner Loop Header: Depth=1
	s_load_dwordx2 s[18:19], s[14:15], 0x0
                                        ; implicit-def: $vgpr7_vgpr8
	s_waitcnt lgkmcnt(0)
	v_or_b32_e32 v4, s19, v6
	v_cmp_ne_u64_e32 vcc, 0, v[3:4]
	s_and_saveexec_b64 s[0:1], vcc
	s_xor_b64 s[20:21], exec, s[0:1]
	s_cbranch_execz .LBB0_4
; %bb.3:                                ;   in Loop: Header=BB0_2 Depth=1
	v_cvt_f32_u32_e32 v4, s18
	v_cvt_f32_u32_e32 v7, s19
	s_sub_u32 s0, 0, s18
	s_subb_u32 s1, 0, s19
	v_mac_f32_e32 v4, 0x4f800000, v7
	v_rcp_f32_e32 v4, v4
	v_mul_f32_e32 v4, 0x5f7ffffc, v4
	v_mul_f32_e32 v7, 0x2f800000, v4
	v_trunc_f32_e32 v7, v7
	v_mac_f32_e32 v4, 0xcf800000, v7
	v_cvt_u32_f32_e32 v7, v7
	v_cvt_u32_f32_e32 v4, v4
	v_mul_lo_u32 v8, s0, v7
	v_mul_hi_u32 v9, s0, v4
	v_mul_lo_u32 v11, s1, v4
	v_mul_lo_u32 v10, s0, v4
	v_add_u32_e32 v8, v9, v8
	v_add_u32_e32 v8, v8, v11
	v_mul_hi_u32 v9, v4, v10
	v_mul_lo_u32 v11, v4, v8
	v_mul_hi_u32 v13, v4, v8
	v_mul_hi_u32 v12, v7, v10
	v_mul_lo_u32 v10, v7, v10
	v_mul_hi_u32 v14, v7, v8
	v_add_co_u32_e32 v9, vcc, v9, v11
	v_addc_co_u32_e32 v11, vcc, 0, v13, vcc
	v_mul_lo_u32 v8, v7, v8
	v_add_co_u32_e32 v9, vcc, v9, v10
	v_addc_co_u32_e32 v9, vcc, v11, v12, vcc
	v_addc_co_u32_e32 v10, vcc, 0, v14, vcc
	v_add_co_u32_e32 v8, vcc, v9, v8
	v_addc_co_u32_e32 v9, vcc, 0, v10, vcc
	v_add_co_u32_e32 v4, vcc, v4, v8
	v_addc_co_u32_e32 v7, vcc, v7, v9, vcc
	v_mul_lo_u32 v8, s0, v7
	v_mul_hi_u32 v9, s0, v4
	v_mul_lo_u32 v10, s1, v4
	v_mul_lo_u32 v11, s0, v4
	v_add_u32_e32 v8, v9, v8
	v_add_u32_e32 v8, v8, v10
	v_mul_lo_u32 v12, v4, v8
	v_mul_hi_u32 v13, v4, v11
	v_mul_hi_u32 v14, v4, v8
	;; [unrolled: 1-line block ×3, first 2 shown]
	v_mul_lo_u32 v11, v7, v11
	v_mul_hi_u32 v9, v7, v8
	v_add_co_u32_e32 v12, vcc, v13, v12
	v_addc_co_u32_e32 v13, vcc, 0, v14, vcc
	v_mul_lo_u32 v8, v7, v8
	v_add_co_u32_e32 v11, vcc, v12, v11
	v_addc_co_u32_e32 v10, vcc, v13, v10, vcc
	v_addc_co_u32_e32 v9, vcc, 0, v9, vcc
	v_add_co_u32_e32 v8, vcc, v10, v8
	v_addc_co_u32_e32 v9, vcc, 0, v9, vcc
	v_add_co_u32_e32 v4, vcc, v4, v8
	v_addc_co_u32_e32 v9, vcc, v7, v9, vcc
	v_mad_u64_u32 v[7:8], s[0:1], v5, v9, 0
	v_mul_hi_u32 v10, v5, v4
	v_add_co_u32_e32 v11, vcc, v10, v7
	v_addc_co_u32_e32 v12, vcc, 0, v8, vcc
	v_mad_u64_u32 v[7:8], s[0:1], v6, v4, 0
	v_mad_u64_u32 v[9:10], s[0:1], v6, v9, 0
	v_add_co_u32_e32 v4, vcc, v11, v7
	v_addc_co_u32_e32 v4, vcc, v12, v8, vcc
	v_addc_co_u32_e32 v7, vcc, 0, v10, vcc
	v_add_co_u32_e32 v4, vcc, v4, v9
	v_addc_co_u32_e32 v9, vcc, 0, v7, vcc
	v_mul_lo_u32 v10, s19, v4
	v_mul_lo_u32 v11, s18, v9
	v_mad_u64_u32 v[7:8], s[0:1], s18, v4, 0
	v_add3_u32 v8, v8, v11, v10
	v_sub_u32_e32 v10, v6, v8
	v_mov_b32_e32 v11, s19
	v_sub_co_u32_e32 v7, vcc, v5, v7
	v_subb_co_u32_e64 v10, s[0:1], v10, v11, vcc
	v_subrev_co_u32_e64 v11, s[0:1], s18, v7
	v_subbrev_co_u32_e64 v10, s[0:1], 0, v10, s[0:1]
	v_cmp_le_u32_e64 s[0:1], s19, v10
	v_cndmask_b32_e64 v12, 0, -1, s[0:1]
	v_cmp_le_u32_e64 s[0:1], s18, v11
	v_cndmask_b32_e64 v11, 0, -1, s[0:1]
	v_cmp_eq_u32_e64 s[0:1], s19, v10
	v_cndmask_b32_e64 v10, v12, v11, s[0:1]
	v_add_co_u32_e64 v11, s[0:1], 2, v4
	v_addc_co_u32_e64 v12, s[0:1], 0, v9, s[0:1]
	v_add_co_u32_e64 v13, s[0:1], 1, v4
	v_addc_co_u32_e64 v14, s[0:1], 0, v9, s[0:1]
	v_subb_co_u32_e32 v8, vcc, v6, v8, vcc
	v_cmp_ne_u32_e64 s[0:1], 0, v10
	v_cmp_le_u32_e32 vcc, s19, v8
	v_cndmask_b32_e64 v10, v14, v12, s[0:1]
	v_cndmask_b32_e64 v12, 0, -1, vcc
	v_cmp_le_u32_e32 vcc, s18, v7
	v_cndmask_b32_e64 v7, 0, -1, vcc
	v_cmp_eq_u32_e32 vcc, s19, v8
	v_cndmask_b32_e32 v7, v12, v7, vcc
	v_cmp_ne_u32_e32 vcc, 0, v7
	v_cndmask_b32_e64 v7, v13, v11, s[0:1]
	v_cndmask_b32_e32 v8, v9, v10, vcc
	v_cndmask_b32_e32 v7, v4, v7, vcc
.LBB0_4:                                ;   in Loop: Header=BB0_2 Depth=1
	s_andn2_saveexec_b64 s[0:1], s[20:21]
	s_cbranch_execz .LBB0_6
; %bb.5:                                ;   in Loop: Header=BB0_2 Depth=1
	v_cvt_f32_u32_e32 v4, s18
	s_sub_i32 s20, 0, s18
	v_rcp_iflag_f32_e32 v4, v4
	v_mul_f32_e32 v4, 0x4f7ffffe, v4
	v_cvt_u32_f32_e32 v4, v4
	v_mul_lo_u32 v7, s20, v4
	v_mul_hi_u32 v7, v4, v7
	v_add_u32_e32 v4, v4, v7
	v_mul_hi_u32 v4, v5, v4
	v_mul_lo_u32 v7, v4, s18
	v_add_u32_e32 v8, 1, v4
	v_sub_u32_e32 v7, v5, v7
	v_subrev_u32_e32 v9, s18, v7
	v_cmp_le_u32_e32 vcc, s18, v7
	v_cndmask_b32_e32 v7, v7, v9, vcc
	v_cndmask_b32_e32 v4, v4, v8, vcc
	v_add_u32_e32 v8, 1, v4
	v_cmp_le_u32_e32 vcc, s18, v7
	v_cndmask_b32_e32 v7, v4, v8, vcc
	v_mov_b32_e32 v8, v3
.LBB0_6:                                ;   in Loop: Header=BB0_2 Depth=1
	s_or_b64 exec, exec, s[0:1]
	v_mul_lo_u32 v4, v8, s18
	v_mul_lo_u32 v11, v7, s19
	v_mad_u64_u32 v[9:10], s[0:1], v7, s18, 0
	s_load_dwordx2 s[0:1], s[6:7], 0x0
	s_add_u32 s16, s16, 1
	v_add3_u32 v4, v10, v11, v4
	v_sub_co_u32_e32 v5, vcc, v5, v9
	v_subb_co_u32_e32 v4, vcc, v6, v4, vcc
	s_waitcnt lgkmcnt(0)
	v_mul_lo_u32 v4, s0, v4
	v_mul_lo_u32 v6, s1, v5
	v_mad_u64_u32 v[1:2], s[0:1], s0, v5, v[1:2]
	s_addc_u32 s17, s17, 0
	s_add_u32 s6, s6, 8
	v_add3_u32 v2, v6, v2, v4
	v_mov_b32_e32 v4, s10
	v_mov_b32_e32 v5, s11
	s_addc_u32 s7, s7, 0
	v_cmp_ge_u64_e32 vcc, s[16:17], v[4:5]
	s_add_u32 s14, s14, 8
	s_addc_u32 s15, s15, 0
	s_cbranch_vccnz .LBB0_9
; %bb.7:                                ;   in Loop: Header=BB0_2 Depth=1
	v_mov_b32_e32 v5, v7
	v_mov_b32_e32 v6, v8
	s_branch .LBB0_2
.LBB0_8:
	v_mov_b32_e32 v8, v6
	v_mov_b32_e32 v7, v5
.LBB0_9:
	s_lshl_b64 s[0:1], s[10:11], 3
	s_add_u32 s0, s2, s0
	s_addc_u32 s1, s3, s1
	s_load_dwordx2 s[2:3], s[0:1], 0x0
	s_load_dwordx2 s[6:7], s[4:5], 0x20
	v_mov_b32_e32 v26, 0
                                        ; implicit-def: $vgpr21
                                        ; implicit-def: $vgpr11
                                        ; implicit-def: $vgpr9
                                        ; implicit-def: $vgpr17
                                        ; implicit-def: $vgpr29
                                        ; implicit-def: $vgpr23
                                        ; implicit-def: $vgpr15
                                        ; implicit-def: $vgpr13
                                        ; implicit-def: $vgpr19
	s_waitcnt lgkmcnt(0)
	v_mad_u64_u32 v[1:2], s[0:1], s2, v7, v[1:2]
	v_mul_lo_u32 v3, s2, v8
	v_mul_lo_u32 v4, s3, v7
	s_mov_b32 s0, 0x2302303
	v_mul_hi_u32 v5, v0, s0
	v_cmp_gt_u64_e64 s[0:1], s[6:7], v[7:8]
	v_add3_u32 v2, v4, v2, v3
	v_lshlrev_b64 v[24:25], 3, v[1:2]
	v_mul_u32_u24_e32 v3, 0x75, v5
	v_sub_u32_e32 v27, v0, v3
                                        ; implicit-def: $vgpr5
                                        ; implicit-def: $vgpr7
                                        ; implicit-def: $vgpr3
	s_and_saveexec_b64 s[2:3], s[0:1]
	s_cbranch_execz .LBB0_13
; %bb.10:
	v_mov_b32_e32 v28, 0
	v_mov_b32_e32 v0, s13
	v_add_co_u32_e32 v2, vcc, s12, v24
	v_addc_co_u32_e32 v3, vcc, v0, v25, vcc
	v_lshlrev_b64 v[0:1], 3, v[27:28]
	s_movk_i32 s4, 0x4e
	v_add_co_u32_e32 v0, vcc, v2, v0
	v_addc_co_u32_e32 v1, vcc, v3, v1, vcc
	v_add_co_u32_e32 v12, vcc, 0x1000, v0
	v_addc_co_u32_e32 v13, vcc, 0, v1, vcc
	global_load_dwordx2 v[4:5], v[0:1], off
	global_load_dwordx2 v[10:11], v[0:1], off offset:936
	global_load_dwordx2 v[8:9], v[12:13], off offset:272
	;; [unrolled: 1-line block ×5, first 2 shown]
	v_add_co_u32_e32 v18, vcc, 0x2000, v0
	v_addc_co_u32_e32 v19, vcc, 0, v1, vcc
	global_load_dwordx2 v[14:15], v[18:19], off offset:544
	global_load_dwordx2 v[20:21], v[0:1], off offset:3432
	global_load_dwordx2 v[12:13], v[0:1], off offset:1872
	v_cmp_gt_u32_e32 vcc, s4, v27
                                        ; implicit-def: $vgpr22
                                        ; implicit-def: $vgpr28
                                        ; implicit-def: $vgpr18
	s_and_saveexec_b64 s[4:5], vcc
	s_cbranch_execz .LBB0_12
; %bb.11:
	v_add_co_u32_e32 v30, vcc, 0x1000, v0
	v_addc_co_u32_e32 v31, vcc, 0, v1, vcc
	v_add_co_u32_e32 v32, vcc, 0x2000, v0
	v_addc_co_u32_e32 v33, vcc, 0, v1, vcc
	global_load_dwordx2 v[18:19], v[0:1], off offset:2808
	global_load_dwordx2 v[22:23], v[30:31], off offset:2144
	;; [unrolled: 1-line block ×3, first 2 shown]
.LBB0_12:
	s_or_b64 exec, exec, s[4:5]
	v_mov_b32_e32 v26, v27
.LBB0_13:
	s_or_b64 exec, exec, s[2:3]
	s_waitcnt vmcnt(1)
	v_add_f32_e32 v1, v5, v21
	v_add_f32_e32 v0, v4, v20
	;; [unrolled: 1-line block ×3, first 2 shown]
	v_sub_f32_e32 v31, v21, v7
	v_add_f32_e32 v32, v21, v7
	v_add_f32_e32 v7, v11, v9
	;; [unrolled: 1-line block ×4, first 2 shown]
	v_sub_f32_e32 v33, v20, v6
	v_add_f32_e32 v6, v10, v8
	v_add_f32_e32 v7, v7, v17
	v_sub_f32_e32 v35, v9, v17
	v_add_f32_e32 v9, v9, v17
	s_waitcnt vmcnt(0)
	v_add_f32_e32 v17, v3, v13
	v_add_f32_e32 v6, v6, v16
	;; [unrolled: 1-line block ×3, first 2 shown]
	v_sub_f32_e32 v16, v8, v16
	v_add_f32_e32 v8, v2, v12
	v_add_f32_e32 v21, v15, v17
	;; [unrolled: 1-line block ×3, first 2 shown]
	v_sub_f32_e32 v38, v2, v14
	v_add_f32_e32 v2, v22, v18
	v_add_f32_e32 v20, v14, v8
	;; [unrolled: 1-line block ×4, first 2 shown]
	v_sub_f32_e32 v36, v3, v15
	v_add_f32_e32 v37, v15, v3
	v_add_f32_e32 v15, v29, v2
	v_sub_f32_e32 v40, v23, v29
	v_add_f32_e32 v29, v29, v23
	v_fmac_f32_e32 v19, -0.5, v29
	v_add_f32_e32 v39, v28, v22
	v_sub_f32_e32 v28, v22, v28
	v_fmac_f32_e32 v10, -0.5, v34
	v_fmac_f32_e32 v11, -0.5, v9
	;; [unrolled: 1-line block ×3, first 2 shown]
	v_mov_b32_e32 v17, v19
	v_fmac_f32_e32 v4, -0.5, v30
	v_fmac_f32_e32 v5, -0.5, v32
	v_mov_b32_e32 v8, v10
	v_mov_b32_e32 v9, v11
	v_fmac_f32_e32 v13, -0.5, v37
	v_fmac_f32_e32 v18, -0.5, v39
	v_fmac_f32_e32 v17, 0x3f5db3d7, v28
	v_fmac_f32_e32 v19, 0xbf5db3d7, v28
	v_mad_u32_u24 v28, v27, 24, 0
	v_mov_b32_e32 v2, v4
	v_mov_b32_e32 v3, v5
	v_fmac_f32_e32 v8, 0xbf5db3d7, v35
	v_fmac_f32_e32 v9, 0x3f5db3d7, v16
	;; [unrolled: 1-line block ×3, first 2 shown]
	v_mov_b32_e32 v22, v12
	v_mov_b32_e32 v23, v13
	;; [unrolled: 1-line block ×3, first 2 shown]
	v_add_u32_e32 v29, 0xaf8, v28
	s_movk_i32 s2, 0x4e
	v_fmac_f32_e32 v2, 0xbf5db3d7, v31
	v_fmac_f32_e32 v4, 0x3f5db3d7, v31
	;; [unrolled: 1-line block ×11, first 2 shown]
	ds_write2_b64 v29, v[6:7], v[8:9] offset1:1
	v_add_u32_e32 v29, 0x15f0, v28
	v_cmp_gt_u32_e32 vcc, s2, v27
	ds_write2_b64 v29, v[20:21], v[22:23] offset1:1
	ds_write2_b64 v28, v[0:1], v[2:3] offset1:1
	ds_write_b64 v28, v[4:5] offset:16
	ds_write_b64 v28, v[10:11] offset:2824
	;; [unrolled: 1-line block ×3, first 2 shown]
	s_and_saveexec_b64 s[2:3], vcc
	s_cbranch_execz .LBB0_15
; %bb.14:
	v_add_u32_e32 v29, 0x20e8, v28
	ds_write2_b64 v29, v[14:15], v[16:17] offset1:1
	ds_write_b64 v28, v[18:19] offset:8440
.LBB0_15:
	s_or_b64 exec, exec, s[2:3]
	s_movk_i32 s2, 0x63
	v_cmp_gt_u32_e64 s[2:3], s2, v27
	s_waitcnt lgkmcnt(0)
	s_barrier
	s_waitcnt lgkmcnt(0)
                                        ; implicit-def: $vgpr29
	s_and_saveexec_b64 s[4:5], s[2:3]
	s_cbranch_execz .LBB0_17
; %bb.16:
	v_lshlrev_b32_e32 v0, 4, v27
	v_sub_u32_e32 v28, v28, v0
	v_add_u32_e32 v12, 0x1c00, v28
	v_add_u32_e32 v4, 0x400, v28
	;; [unrolled: 1-line block ×4, first 2 shown]
	ds_read2_b64 v[16:19], v12 offset0:94 offset1:193
	v_add_u32_e32 v12, 0x1800, v28
	ds_read2_b64 v[0:3], v28 offset1:99
	ds_read2_b64 v[4:7], v4 offset0:70 offset1:169
	ds_read2_b64 v[8:11], v8 offset0:140 offset1:239
	;; [unrolled: 1-line block ×4, first 2 shown]
	ds_read_b64 v[28:29], v28 offset:9504
.LBB0_17:
	s_or_b64 exec, exec, s[4:5]
	s_movk_i32 s4, 0xab
	v_mul_lo_u16_sdwa v30, v27, s4 dst_sel:DWORD dst_unused:UNUSED_PAD src0_sel:BYTE_0 src1_sel:DWORD
	v_lshrrev_b16_e32 v30, 9, v30
	v_mul_lo_u16_e32 v31, 3, v30
	v_sub_u16_e32 v31, v27, v31
	v_mov_b32_e32 v32, 12
	v_mul_u32_u24_sdwa v32, v31, v32 dst_sel:DWORD dst_unused:UNUSED_PAD src0_sel:BYTE_0 src1_sel:DWORD
	v_lshlrev_b32_e32 v32, 3, v32
	global_load_dwordx4 v[44:47], v32, s[8:9] offset:32
	global_load_dwordx4 v[48:51], v32, s[8:9] offset:48
	;; [unrolled: 1-line block ×5, first 2 shown]
	global_load_dwordx4 v[64:67], v32, s[8:9]
	s_mov_b32 s6, 0x3f116cb1
	s_mov_b32 s7, 0xbeb58ec6
	;; [unrolled: 1-line block ×6, first 2 shown]
	s_waitcnt vmcnt(0) lgkmcnt(0)
	s_barrier
	v_mul_f32_e32 v32, v11, v45
	v_mul_f32_e32 v45, v10, v45
	;; [unrolled: 1-line block ×18, first 2 shown]
	v_fmac_f32_e32 v32, v10, v44
	v_fma_f32 v10, v11, v44, -v45
	v_fmac_f32_e32 v33, v20, v46
	v_fma_f32 v11, v21, v46, -v47
	v_fma_f32 v44, v9, v54, -v55
	;; [unrolled: 1-line block ×5, first 2 shown]
	v_mul_f32_e32 v34, v23, v49
	v_mul_f32_e32 v49, v22, v49
	;; [unrolled: 1-line block ×6, first 2 shown]
	v_fmac_f32_e32 v35, v12, v50
	v_fma_f32 v12, v13, v50, -v51
	v_fmac_f32_e32 v37, v14, v56
	v_fma_f32 v14, v19, v60, -v61
	v_fmac_f32_e32 v41, v28, v62
	v_fma_f32 v45, v5, v66, -v67
	v_fmac_f32_e32 v43, v2, v64
	v_sub_f32_e32 v50, v46, v15
	v_fmac_f32_e32 v34, v22, v48
	v_fma_f32 v22, v23, v48, -v49
	v_fma_f32 v23, v7, v52, -v53
	v_fmac_f32_e32 v38, v8, v54
	v_fmac_f32_e32 v39, v16, v58
	v_fma_f32 v13, v17, v58, -v59
	v_fmac_f32_e32 v40, v18, v60
	v_fmac_f32_e32 v42, v4, v66
	v_add_f32_e32 v2, v43, v41
	v_sub_f32_e32 v49, v45, v14
	v_add_f32_e32 v54, v46, v15
	v_mul_f32_e32 v58, 0xbf52af12, v50
	v_fmac_f32_e32 v36, v6, v52
	v_add_f32_e32 v3, v42, v40
	v_add_f32_e32 v53, v45, v14
	v_sub_f32_e32 v52, v23, v13
	v_mul_f32_e32 v57, 0xbf6f5d39, v49
	v_mul_f32_e32 v62, 0x3f116cb1, v54
	v_fma_f32 v8, v2, s6, -v58
	v_sub_f32_e32 v6, v43, v41
	v_add_f32_e32 v4, v36, v39
	v_add_f32_e32 v55, v23, v13
	v_mul_f32_e32 v60, 0xbeb58ec6, v53
	v_mul_f32_e32 v59, 0xbe750f2a, v52
	v_fma_f32 v16, v3, s7, -v57
	v_mov_b32_e32 v17, v62
	v_add_f32_e32 v8, v0, v8
	v_sub_f32_e32 v5, v42, v40
	v_mul_f32_e32 v61, 0xbf788fa5, v55
	v_mov_b32_e32 v18, v60
	v_fma_f32 v19, v4, s10, -v59
	v_fmac_f32_e32 v17, 0xbf52af12, v6
	v_add_f32_e32 v8, v16, v8
	v_sub_f32_e32 v7, v36, v39
	v_fmac_f32_e32 v18, 0xbf6f5d39, v5
	v_add_f32_e32 v16, v1, v17
	v_add_f32_e32 v17, v19, v8
	v_mov_b32_e32 v8, v61
	v_add_f32_e32 v16, v18, v16
	v_fmac_f32_e32 v8, 0xbe750f2a, v7
	v_sub_f32_e32 v56, v44, v9
	v_add_f32_e32 v16, v8, v16
	v_add_f32_e32 v8, v38, v37
	v_mul_f32_e32 v65, 0x3f29c268, v56
	v_add_f32_e32 v64, v44, v9
	v_fma_f32 v18, v8, s11, -v65
	v_mul_f32_e32 v68, 0xbf3f9e67, v64
	v_add_f32_e32 v17, v18, v17
	v_sub_f32_e32 v28, v38, v37
	v_mov_b32_e32 v18, v68
	v_sub_f32_e32 v63, v10, v12
	v_fmac_f32_e32 v18, 0x3f29c268, v28
	v_add_f32_e32 v29, v32, v35
	v_mul_f32_e32 v69, 0x3f7e222b, v63
	v_add_f32_e32 v67, v10, v12
	v_add_f32_e32 v16, v18, v16
	v_fma_f32 v18, v29, s14, -v69
	v_mul_f32_e32 v71, 0x3df6dbef, v67
	v_add_f32_e32 v17, v18, v17
	v_sub_f32_e32 v47, v32, v35
	v_mov_b32_e32 v18, v71
	v_sub_f32_e32 v66, v11, v22
	v_fmac_f32_e32 v18, 0x3f7e222b, v47
	v_add_f32_e32 v48, v33, v34
	v_mul_f32_e32 v72, 0x3eedf032, v66
	v_add_f32_e32 v70, v11, v22
	v_add_f32_e32 v18, v18, v16
	v_fma_f32 v16, v48, s15, -v72
	v_mul_f32_e32 v73, 0x3f62ad3f, v70
	v_add_f32_e32 v16, v16, v17
	v_sub_f32_e32 v51, v33, v34
	v_mov_b32_e32 v17, v73
	v_fmac_f32_e32 v17, 0x3eedf032, v51
	v_mul_f32_e32 v74, 0xbf7e222b, v50
	v_add_f32_e32 v17, v17, v18
	v_fma_f32 v18, v2, s14, -v74
	v_mul_f32_e32 v75, 0xbe750f2a, v49
	v_add_f32_e32 v18, v0, v18
	v_fma_f32 v19, v3, s10, -v75
	v_mul_f32_e32 v80, 0x3df6dbef, v54
	v_add_f32_e32 v18, v19, v18
	v_mov_b32_e32 v19, v80
	v_mul_f32_e32 v81, 0xbf788fa5, v53
	v_fmac_f32_e32 v19, 0xbf7e222b, v6
	v_mov_b32_e32 v20, v81
	v_add_f32_e32 v19, v1, v19
	v_fmac_f32_e32 v20, 0xbe750f2a, v5
	v_mul_f32_e32 v76, 0x3f6f5d39, v52
	v_add_f32_e32 v19, v20, v19
	v_fma_f32 v20, v4, s7, -v76
	v_mul_f32_e32 v82, 0xbeb58ec6, v55
	v_add_f32_e32 v18, v20, v18
	v_mov_b32_e32 v20, v82
	v_fmac_f32_e32 v20, 0x3f6f5d39, v7
	v_mul_f32_e32 v77, 0x3eedf032, v56
	v_add_f32_e32 v19, v20, v19
	v_fma_f32 v20, v8, s15, -v77
	v_mul_f32_e32 v83, 0x3f62ad3f, v64
	v_add_f32_e32 v18, v20, v18
	v_mov_b32_e32 v20, v83
	;; [unrolled: 7-line block ×4, first 2 shown]
	v_fmac_f32_e32 v20, 0xbf29c268, v51
	v_mul_f32_e32 v86, 0xbf6f5d39, v50
	v_add_f32_e32 v19, v20, v19
	v_fma_f32 v20, v2, s7, -v86
	v_mul_f32_e32 v87, 0x3f29c268, v49
	v_add_f32_e32 v20, v0, v20
	v_fma_f32 v21, v3, s11, -v87
	v_mul_f32_e32 v92, 0xbeb58ec6, v54
	v_add_f32_e32 v20, v21, v20
	v_mov_b32_e32 v21, v92
	v_mul_f32_e32 v93, 0xbf3f9e67, v53
	v_fmac_f32_e32 v21, 0xbf6f5d39, v6
	v_mov_b32_e32 v88, v93
	v_add_f32_e32 v21, v1, v21
	v_fmac_f32_e32 v88, 0x3f29c268, v5
	v_add_f32_e32 v21, v88, v21
	v_mul_f32_e32 v88, 0x3eedf032, v52
	v_fma_f32 v89, v4, s15, -v88
	v_mul_f32_e32 v94, 0x3f62ad3f, v55
	v_add_f32_e32 v20, v89, v20
	v_mov_b32_e32 v89, v94
	v_fmac_f32_e32 v89, 0x3eedf032, v7
	v_add_f32_e32 v21, v89, v21
	v_mul_f32_e32 v89, 0xbf7e222b, v56
	v_fma_f32 v90, v8, s14, -v89
	v_mul_f32_e32 v95, 0x3df6dbef, v64
	v_add_f32_e32 v20, v90, v20
	v_mov_b32_e32 v90, v95
	;; [unrolled: 7-line block ×3, first 2 shown]
	v_fmac_f32_e32 v91, 0x3e750f2a, v47
	v_add_f32_e32 v21, v91, v21
	v_mul_f32_e32 v91, 0x3f52af12, v66
	v_fma_f32 v97, v48, s6, -v91
	v_add_f32_e32 v20, v97, v20
	v_mul_f32_e32 v97, 0x3f116cb1, v70
	v_mov_b32_e32 v98, v97
	v_fmac_f32_e32 v98, 0x3f52af12, v51
	v_add_f32_e32 v21, v98, v21
	s_and_saveexec_b64 s[4:5], s[2:3]
	s_cbranch_execz .LBB0_19
; %bb.18:
	v_mul_f32_e32 v102, 0xbf788fa5, v54
	v_mov_b32_e32 v98, v102
	v_mul_f32_e32 v103, 0x3f62ad3f, v53
	v_fmac_f32_e32 v98, 0x3e750f2a, v6
	v_mov_b32_e32 v99, v103
	v_add_f32_e32 v98, v1, v98
	v_fmac_f32_e32 v99, 0xbeedf032, v5
	v_mul_f32_e32 v104, 0xbf3f9e67, v55
	v_add_f32_e32 v98, v99, v98
	v_mov_b32_e32 v99, v104
	v_fmac_f32_e32 v99, 0x3f29c268, v7
	v_mul_f32_e32 v105, 0x3f116cb1, v64
	v_add_f32_e32 v98, v99, v98
	v_mov_b32_e32 v99, v105
	;; [unrolled: 4-line block ×5, first 2 shown]
	v_mul_f32_e32 v109, 0x3eedf032, v49
	v_fmac_f32_e32 v98, 0xbf788fa5, v2
	v_mov_b32_e32 v100, v109
	v_add_f32_e32 v98, v0, v98
	v_fmac_f32_e32 v100, 0x3f62ad3f, v3
	v_mul_f32_e32 v110, 0xbf29c268, v52
	v_add_f32_e32 v98, v100, v98
	v_mov_b32_e32 v100, v110
	v_fmac_f32_e32 v100, 0xbf3f9e67, v4
	v_mul_f32_e32 v111, 0x3f52af12, v56
	v_add_f32_e32 v98, v100, v98
	v_mov_b32_e32 v100, v111
	;; [unrolled: 4-line block ×5, first 2 shown]
	v_mul_f32_e32 v115, 0x3df6dbef, v53
	v_fmac_f32_e32 v100, 0x3f29c268, v6
	v_mov_b32_e32 v101, v115
	v_add_f32_e32 v100, v1, v100
	v_fmac_f32_e32 v101, 0xbf7e222b, v5
	v_mul_f32_e32 v116, 0x3f116cb1, v55
	v_add_f32_e32 v100, v101, v100
	v_mov_b32_e32 v101, v116
	v_fmac_f32_e32 v101, 0x3f52af12, v7
	v_mul_f32_e32 v117, 0xbf788fa5, v64
	v_add_f32_e32 v100, v101, v100
	v_mov_b32_e32 v101, v117
	;; [unrolled: 4-line block ×4, first 2 shown]
	v_mul_f32_e32 v121, 0x3f7e222b, v49
	v_fmac_f32_e32 v101, 0xbf3f9e67, v2
	v_mov_b32_e32 v122, v121
	v_add_f32_e32 v101, v0, v101
	v_fmac_f32_e32 v122, 0x3df6dbef, v3
	v_add_f32_e32 v101, v122, v101
	v_mul_f32_e32 v122, 0xbf52af12, v52
	v_mov_b32_e32 v123, v122
	v_fmac_f32_e32 v123, 0x3f116cb1, v4
	v_add_f32_e32 v101, v123, v101
	v_mul_f32_e32 v123, 0x3e750f2a, v56
	v_mov_b32_e32 v124, v123
	v_fmac_f32_e32 v124, 0xbf788fa5, v8
	v_add_f32_e32 v101, v124, v101
	v_mul_f32_e32 v124, 0x3eedf032, v63
	v_mov_b32_e32 v125, v124
	v_mul_f32_e32 v119, 0xbeb58ec6, v70
	v_fmac_f32_e32 v125, 0x3f62ad3f, v29
	v_add_f32_e32 v125, v125, v101
	v_mov_b32_e32 v101, v119
	v_fmac_f32_e32 v101, 0x3f6f5d39, v51
	v_mul_f32_e32 v126, 0xbf6f5d39, v66
	v_add_f32_e32 v101, v101, v100
	v_mov_b32_e32 v100, v126
	v_fmac_f32_e32 v100, 0xbeb58ec6, v48
	v_add_f32_e32 v100, v100, v125
	v_mul_f32_e32 v125, 0xbf6f5d39, v6
	v_sub_f32_e32 v92, v92, v125
	v_mul_f32_e32 v125, 0x3f29c268, v5
	v_sub_f32_e32 v93, v93, v125
	v_add_f32_e32 v92, v1, v92
	v_add_f32_e32 v92, v93, v92
	v_mul_f32_e32 v93, 0x3eedf032, v7
	v_sub_f32_e32 v93, v94, v93
	v_add_f32_e32 v92, v93, v92
	v_mul_f32_e32 v93, 0xbf7e222b, v28
	v_sub_f32_e32 v93, v95, v93
	;; [unrolled: 3-line block ×4, first 2 shown]
	v_mul_f32_e32 v97, 0xbeb58ec6, v2
	v_add_f32_e32 v86, v97, v86
	v_mul_f32_e32 v97, 0xbf3f9e67, v3
	v_add_f32_e32 v87, v97, v87
	v_add_f32_e32 v86, v0, v86
	;; [unrolled: 1-line block ×3, first 2 shown]
	v_mul_f32_e32 v87, 0x3f62ad3f, v4
	v_add_f32_e32 v87, v87, v88
	v_add_f32_e32 v86, v87, v86
	v_mul_f32_e32 v87, 0x3df6dbef, v8
	v_mul_f32_e32 v97, 0xbf7e222b, v6
	v_add_f32_e32 v87, v87, v89
	v_add_f32_e32 v86, v87, v86
	v_mul_f32_e32 v87, 0xbf788fa5, v29
	v_mul_f32_e32 v125, 0xbe750f2a, v5
	v_sub_f32_e32 v80, v80, v97
	v_add_f32_e32 v87, v87, v90
	v_sub_f32_e32 v81, v81, v125
	v_mul_f32_e32 v97, 0x3f6f5d39, v7
	v_add_f32_e32 v80, v1, v80
	v_mul_f32_e32 v94, 0x3f116cb1, v2
	v_add_f32_e32 v86, v87, v86
	;; [unrolled: 2-line block ×3, first 2 shown]
	v_sub_f32_e32 v82, v82, v97
	v_mul_f32_e32 v88, 0xbeb58ec6, v3
	v_add_f32_e32 v91, v87, v91
	v_add_f32_e32 v80, v82, v80
	v_mul_f32_e32 v82, 0x3eedf032, v28
	v_add_f32_e32 v58, v94, v58
	v_add_f32_e32 v86, v91, v86
	v_mul_f32_e32 v91, 0xbf788fa5, v4
	v_sub_f32_e32 v82, v83, v82
	v_add_f32_e32 v58, v0, v58
	v_add_f32_e32 v57, v88, v57
	v_mul_f32_e32 v81, 0xbf3f9e67, v8
	v_add_f32_e32 v80, v82, v80
	v_mul_f32_e32 v82, 0xbf52af12, v47
	v_add_f32_e32 v57, v57, v58
	v_add_f32_e32 v58, v91, v59
	v_mul_f32_e32 v90, 0xbf788fa5, v3
	v_sub_f32_e32 v82, v84, v82
	v_mul_f32_e32 v84, 0x3df6dbef, v29
	v_add_f32_e32 v57, v58, v57
	v_add_f32_e32 v58, v81, v65
	;; [unrolled: 1-line block ×3, first 2 shown]
	v_mul_f32_e32 v90, 0x3f62ad3f, v48
	v_add_f32_e32 v57, v58, v57
	v_add_f32_e32 v58, v84, v69
	v_mul_f32_e32 v95, 0xbf52af12, v6
	v_add_f32_e32 v57, v58, v57
	v_add_f32_e32 v58, v90, v72
	v_mul_f32_e32 v54, 0x3f62ad3f, v54
	v_add_f32_e32 v46, v1, v46
	v_mul_f32_e32 v89, 0xbf6f5d39, v5
	v_sub_f32_e32 v62, v62, v95
	v_add_f32_e32 v59, v58, v57
	v_mov_b32_e32 v57, v54
	v_mul_f32_e32 v58, 0x3f116cb1, v53
	v_add_f32_e32 v45, v46, v45
	v_add_f32_e32 v87, v93, v92
	v_mul_f32_e32 v92, 0xbe750f2a, v7
	v_add_f32_e32 v62, v1, v62
	v_sub_f32_e32 v60, v60, v89
	v_fmac_f32_e32 v57, 0x3eedf032, v6
	v_mov_b32_e32 v53, v58
	v_add_f32_e32 v23, v45, v23
	v_mul_f32_e32 v97, 0x3f29c268, v28
	v_add_f32_e32 v80, v82, v80
	v_mul_f32_e32 v82, 0xbf29c268, v51
	v_add_f32_e32 v60, v60, v62
	v_sub_f32_e32 v61, v61, v92
	v_add_f32_e32 v57, v1, v57
	v_fmac_f32_e32 v53, 0x3f52af12, v5
	v_mul_f32_e32 v55, 0x3df6dbef, v55
	v_add_f32_e32 v23, v23, v44
	v_sub_f32_e32 v82, v85, v82
	v_mul_f32_e32 v85, 0x3f7e222b, v47
	v_add_f32_e32 v60, v61, v60
	v_sub_f32_e32 v61, v68, v97
	v_add_f32_e32 v53, v53, v57
	v_mov_b32_e32 v57, v55
	v_add_f32_e32 v10, v23, v10
	v_fmac_f32_e32 v102, 0xbe750f2a, v6
	v_mul_f32_e32 v125, 0x3eedf032, v51
	v_add_f32_e32 v60, v61, v60
	v_sub_f32_e32 v61, v71, v85
	v_fmac_f32_e32 v57, 0x3f7e222b, v7
	v_add_f32_e32 v10, v10, v11
	v_add_f32_e32 v11, v1, v102
	v_fmac_f32_e32 v103, 0x3eedf032, v5
	v_add_f32_e32 v60, v61, v60
	v_sub_f32_e32 v61, v73, v125
	v_add_f32_e32 v53, v57, v53
	v_mul_f32_e32 v57, 0xbeb58ec6, v64
	v_add_f32_e32 v11, v103, v11
	v_fmac_f32_e32 v104, 0xbf29c268, v7
	v_add_f32_e32 v60, v61, v60
	v_mov_b32_e32 v61, v57
	v_add_f32_e32 v11, v104, v11
	v_fmac_f32_e32 v105, 0x3f52af12, v28
	v_fmac_f32_e32 v61, 0x3f6f5d39, v28
	v_add_f32_e32 v10, v10, v22
	v_add_f32_e32 v11, v105, v11
	v_fmac_f32_e32 v106, 0xbf6f5d39, v47
	v_add_f32_e32 v53, v61, v53
	v_mul_f32_e32 v61, 0xbf3f9e67, v67
	v_add_f32_e32 v10, v10, v12
	v_add_f32_e32 v11, v106, v11
	v_fmac_f32_e32 v107, 0x3f7e222b, v51
	v_mov_b32_e32 v62, v61
	v_add_f32_e32 v9, v10, v9
	v_add_f32_e32 v12, v107, v11
	v_fma_f32 v11, v2, s10, -v108
	v_fmac_f32_e32 v62, 0x3f29c268, v47
	v_add_f32_e32 v9, v9, v13
	v_add_f32_e32 v11, v0, v11
	v_fma_f32 v13, v3, s15, -v109
	v_add_f32_e32 v53, v62, v53
	v_mul_f32_e32 v62, 0xbf788fa5, v70
	v_add_f32_e32 v11, v13, v11
	v_fma_f32 v13, v4, s11, -v110
	v_mov_b32_e32 v64, v62
	v_add_f32_e32 v11, v13, v11
	v_fma_f32 v13, v8, s6, -v111
	v_fmac_f32_e32 v64, 0x3e750f2a, v51
	v_mul_f32_e32 v50, 0xbeedf032, v50
	v_add_f32_e32 v11, v13, v11
	v_fma_f32 v13, v29, s7, -v112
	v_add_f32_e32 v53, v64, v53
	v_mov_b32_e32 v64, v50
	v_mul_f32_e32 v49, 0xbf52af12, v49
	v_add_f32_e32 v11, v13, v11
	v_fma_f32 v13, v48, s14, -v113
	v_fmac_f32_e32 v114, 0xbf29c268, v6
	v_fmac_f32_e32 v64, 0x3f62ad3f, v2
	v_mov_b32_e32 v65, v49
	v_add_f32_e32 v9, v9, v14
	v_add_f32_e32 v11, v13, v11
	;; [unrolled: 1-line block ×3, first 2 shown]
	v_fmac_f32_e32 v115, 0x3f7e222b, v5
	v_add_f32_e32 v64, v0, v64
	v_fmac_f32_e32 v65, 0x3f116cb1, v3
	v_add_f32_e32 v10, v9, v15
	v_add_f32_e32 v9, v0, v43
	;; [unrolled: 1-line block ×3, first 2 shown]
	v_fmac_f32_e32 v116, 0xbf52af12, v7
	v_add_f32_e32 v64, v65, v64
	v_mul_f32_e32 v65, 0xbf7e222b, v52
	v_add_f32_e32 v9, v9, v42
	v_add_f32_e32 v13, v116, v13
	v_fmac_f32_e32 v117, 0x3e750f2a, v28
	v_mov_b32_e32 v52, v65
	v_add_f32_e32 v9, v9, v36
	v_add_f32_e32 v13, v117, v13
	v_fmac_f32_e32 v118, 0x3eedf032, v47
	v_mul_f32_e32 v96, 0x3df6dbef, v2
	v_fmac_f32_e32 v52, 0x3df6dbef, v4
	v_mul_f32_e32 v56, 0xbf6f5d39, v56
	v_add_f32_e32 v9, v9, v38
	v_add_f32_e32 v13, v118, v13
	v_fmac_f32_e32 v119, 0xbf6f5d39, v51
	v_add_f32_e32 v74, v96, v74
	v_add_f32_e32 v52, v52, v64
	v_mov_b32_e32 v64, v56
	v_add_f32_e32 v9, v9, v32
	v_add_f32_e32 v14, v119, v13
	v_fma_f32 v13, v2, s11, -v120
	v_fma_f32 v2, v2, s15, -v50
	v_add_f32_e32 v74, v0, v74
	v_fmac_f32_e32 v64, 0xbeb58ec6, v8
	v_mul_f32_e32 v63, 0xbf29c268, v63
	v_add_f32_e32 v9, v9, v33
	v_add_f32_e32 v13, v0, v13
	v_add_f32_e32 v0, v0, v2
	v_fma_f32 v2, v3, s6, -v49
	v_add_f32_e32 v52, v64, v52
	v_mov_b32_e32 v64, v63
	v_add_f32_e32 v9, v9, v34
	v_fmac_f32_e32 v54, 0xbeedf032, v6
	v_add_f32_e32 v0, v2, v0
	v_fma_f32 v2, v4, s14, -v65
	v_mul_f32_e32 v93, 0xbeb58ec6, v4
	v_fmac_f32_e32 v64, 0xbf3f9e67, v29
	v_add_f32_e32 v9, v9, v35
	v_fma_f32 v15, v3, s14, -v121
	v_add_f32_e32 v1, v1, v54
	v_fmac_f32_e32 v58, 0xbf52af12, v5
	v_add_f32_e32 v0, v2, v0
	v_fma_f32 v2, v8, s7, -v56
	v_mul_f32_e32 v83, 0x3f62ad3f, v8
	v_add_f32_e32 v74, v75, v74
	v_add_f32_e32 v76, v93, v76
	;; [unrolled: 1-line block ×3, first 2 shown]
	v_mul_f32_e32 v64, 0xbe750f2a, v66
	v_add_f32_e32 v9, v9, v37
	v_add_f32_e32 v13, v15, v13
	v_fma_f32 v15, v4, s6, -v122
	v_add_f32_e32 v1, v58, v1
	v_fmac_f32_e32 v55, 0xbf7e222b, v7
	v_add_f32_e32 v0, v2, v0
	v_fma_f32 v2, v29, s11, -v63
	v_mul_f32_e32 v96, 0x3f116cb1, v29
	v_add_f32_e32 v74, v76, v74
	v_add_f32_e32 v76, v83, v77
	v_mov_b32_e32 v66, v64
	v_add_f32_e32 v9, v9, v39
	v_add_f32_e32 v13, v15, v13
	v_fma_f32 v15, v8, s10, -v123
	v_add_f32_e32 v1, v55, v1
	v_fmac_f32_e32 v57, 0xbf6f5d39, v28
	v_add_f32_e32 v0, v2, v0
	v_fma_f32 v2, v48, s10, -v64
	v_mov_b32_e32 v3, 3
	v_mul_f32_e32 v93, 0xbf3f9e67, v48
	v_add_f32_e32 v74, v76, v74
	v_add_f32_e32 v76, v96, v78
	v_fmac_f32_e32 v66, 0xbf788fa5, v48
	v_add_f32_e32 v9, v9, v40
	v_add_f32_e32 v13, v15, v13
	v_fma_f32 v15, v29, s15, -v124
	v_add_f32_e32 v1, v57, v1
	v_fmac_f32_e32 v61, 0xbf29c268, v47
	v_add_f32_e32 v0, v2, v0
	v_mul_u32_u24_e32 v2, 0x138, v30
	v_lshlrev_b32_sdwa v3, v3, v31 dst_sel:DWORD dst_unused:UNUSED_PAD src0_sel:DWORD src1_sel:BYTE_0
	v_add_f32_e32 v74, v76, v74
	v_add_f32_e32 v76, v93, v79
	;; [unrolled: 1-line block ×5, first 2 shown]
	v_fma_f32 v15, v48, s7, -v126
	v_add_f32_e32 v1, v61, v1
	v_fmac_f32_e32 v62, 0xbe750f2a, v51
	v_add3_u32 v2, 0, v2, v3
	v_add_f32_e32 v75, v82, v80
	v_add_f32_e32 v74, v76, v74
	;; [unrolled: 1-line block ×4, first 2 shown]
	ds_write2_b64 v2, v[9:10], v[52:53] offset1:3
	ds_write2_b64 v2, v[59:60], v[74:75] offset0:6 offset1:9
	ds_write2_b64 v2, v[86:87], v[100:101] offset0:12 offset1:15
	ds_write2_b64 v2, v[98:99], v[11:12] offset0:18 offset1:21
	ds_write2_b64 v2, v[13:14], v[20:21] offset0:24 offset1:27
	ds_write2_b64 v2, v[18:19], v[16:17] offset0:30 offset1:33
	ds_write_b64 v2, v[0:1] offset:288
.LBB0_19:
	s_or_b64 exec, exec, s[4:5]
	v_lshl_add_u32 v28, v27, 3, 0
	v_add_u32_e32 v0, 0x600, v28
	v_add_u32_e32 v8, 0x1800, v28
	v_add_u32_e32 v12, 0x1000, v28
	s_waitcnt lgkmcnt(0)
	s_barrier
	ds_read2_b64 v[4:7], v28 offset1:117
	ds_read2_b64 v[0:3], v0 offset0:42 offset1:237
	ds_read2_b64 v[8:11], v8 offset0:90 offset1:207
	;; [unrolled: 1-line block ×3, first 2 shown]
	ds_read_b64 v[22:23], v28 offset:8736
	s_and_saveexec_b64 s[2:3], vcc
	s_cbranch_execz .LBB0_21
; %bb.20:
	ds_read_b64 v[20:21], v28 offset:2808
	ds_read_b64 v[18:19], v28 offset:6240
	;; [unrolled: 1-line block ×3, first 2 shown]
.LBB0_21:
	s_or_b64 exec, exec, s[2:3]
	s_movk_i32 s2, 0xa5
	v_mul_lo_u16_sdwa v30, v27, s2 dst_sel:DWORD dst_unused:UNUSED_PAD src0_sel:BYTE_0 src1_sel:DWORD
	v_sub_u16_sdwa v31, v27, v30 dst_sel:DWORD dst_unused:UNUSED_PAD src0_sel:DWORD src1_sel:BYTE_1
	v_lshrrev_b16_e32 v31, 1, v31
	v_and_b32_e32 v31, 0x7f, v31
	v_add_u16_sdwa v30, v31, v30 dst_sel:DWORD dst_unused:UNUSED_PAD src0_sel:DWORD src1_sel:BYTE_1
	v_lshrrev_b16_e32 v30, 5, v30
	v_and_b32_e32 v41, 7, v30
	v_add_u32_e32 v29, 0xea, v27
	v_mul_lo_u16_e32 v30, 39, v41
	v_add_u16_e32 v38, 0x75, v27
	s_mov_b32 s4, 0xa41b
	v_sub_u16_e32 v42, v27, v30
	v_mul_u32_u24_sdwa v30, v29, s4 dst_sel:DWORD dst_unused:UNUSED_PAD src0_sel:WORD_0 src1_sel:DWORD
	v_mul_lo_u16_sdwa v34, v38, s2 dst_sel:DWORD dst_unused:UNUSED_PAD src0_sel:BYTE_0 src1_sel:DWORD
	v_sub_u16_sdwa v31, v29, v30 dst_sel:DWORD dst_unused:UNUSED_PAD src0_sel:DWORD src1_sel:WORD_1
	v_sub_u16_sdwa v35, v38, v34 dst_sel:DWORD dst_unused:UNUSED_PAD src0_sel:DWORD src1_sel:BYTE_1
	v_lshrrev_b16_e32 v31, 1, v31
	v_lshrrev_b16_e32 v35, 1, v35
	v_add_u16_sdwa v30, v31, v30 dst_sel:DWORD dst_unused:UNUSED_PAD src0_sel:DWORD src1_sel:WORD_1
	v_and_b32_e32 v35, 0x7f, v35
	v_lshrrev_b16_e32 v43, 5, v30
	v_add_u16_sdwa v34, v35, v34 dst_sel:DWORD dst_unused:UNUSED_PAD src0_sel:DWORD src1_sel:BYTE_1
	v_mul_lo_u16_e32 v30, 39, v43
	v_lshrrev_b16_e32 v34, 5, v34
	v_sub_u16_e32 v44, v29, v30
	v_and_b32_e32 v45, 7, v34
	v_mov_b32_e32 v37, 4
	v_lshlrev_b32_e32 v29, 4, v44
	v_mul_lo_u16_e32 v39, 39, v45
	v_lshlrev_b32_sdwa v33, v37, v42 dst_sel:DWORD dst_unused:UNUSED_PAD src0_sel:DWORD src1_sel:BYTE_0
	global_load_dwordx4 v[29:32], v29, s[8:9] offset:288
	v_sub_u16_e32 v46, v38, v39
	global_load_dwordx4 v[33:36], v33, s[8:9] offset:288
	v_lshlrev_b32_sdwa v37, v37, v46 dst_sel:DWORD dst_unused:UNUSED_PAD src0_sel:DWORD src1_sel:BYTE_0
	global_load_dwordx4 v[37:40], v37, s[8:9] offset:288
	s_movk_i32 s2, 0x3a8
	s_waitcnt vmcnt(0) lgkmcnt(0)
	s_barrier
	v_mul_f32_e32 v47, v30, v15
	v_mul_f32_e32 v30, v30, v14
	;; [unrolled: 1-line block ×4, first 2 shown]
	v_fmac_f32_e32 v47, v29, v14
	v_fma_f32 v29, v29, v15, -v30
	v_mul_f32_e32 v15, v34, v2
	v_mul_f32_e32 v30, v36, v8
	v_fmac_f32_e32 v48, v31, v22
	v_fma_f32 v23, v31, v23, -v32
	v_mul_f32_e32 v14, v34, v3
	v_mul_f32_e32 v22, v36, v9
	;; [unrolled: 1-line block ×3, first 2 shown]
	v_fma_f32 v3, v33, v3, -v15
	v_fma_f32 v9, v35, v9, -v30
	v_mul_f32_e32 v31, v38, v13
	v_mul_f32_e32 v36, v40, v10
	v_fmac_f32_e32 v14, v33, v2
	v_fmac_f32_e32 v22, v35, v8
	v_fma_f32 v8, v37, v13, -v32
	v_sub_f32_e32 v30, v3, v9
	v_add_f32_e32 v13, v5, v3
	v_add_f32_e32 v3, v3, v9
	v_mul_f32_e32 v34, v40, v11
	v_fmac_f32_e32 v31, v37, v12
	v_fma_f32 v11, v39, v11, -v36
	v_add_f32_e32 v12, v14, v22
	v_fma_f32 v5, -0.5, v3, v5
	v_add_f32_e32 v3, v1, v29
	v_sub_f32_e32 v49, v29, v23
	v_fmac_f32_e32 v34, v39, v10
	v_add_f32_e32 v10, v4, v14
	v_add_f32_e32 v36, v8, v11
	v_fma_f32 v4, -0.5, v12, v4
	v_add_f32_e32 v3, v3, v23
	v_add_f32_e32 v23, v29, v23
	;; [unrolled: 1-line block ×4, first 2 shown]
	v_fmac_f32_e32 v7, -0.5, v36
	v_mov_b32_e32 v12, v4
	v_fmac_f32_e32 v1, -0.5, v23
	v_sub_f32_e32 v32, v14, v22
	v_add_f32_e32 v14, v6, v31
	v_sub_f32_e32 v31, v31, v34
	v_fma_f32 v6, -0.5, v15, v6
	v_fmac_f32_e32 v4, 0x3f5db3d7, v30
	v_mov_b32_e32 v15, v7
	v_fmac_f32_e32 v12, 0xbf5db3d7, v30
	v_sub_f32_e32 v29, v47, v48
	v_mov_b32_e32 v23, v1
	v_mov_b32_e32 v30, 3
	v_add_f32_e32 v9, v13, v9
	v_mov_b32_e32 v13, v5
	v_fmac_f32_e32 v7, 0xbf5db3d7, v31
	v_fmac_f32_e32 v15, 0x3f5db3d7, v31
	;; [unrolled: 1-line block ×4, first 2 shown]
	v_mul_u32_u24_sdwa v29, v41, s2 dst_sel:DWORD dst_unused:UNUSED_PAD src0_sel:WORD_0 src1_sel:DWORD
	v_lshlrev_b32_sdwa v31, v30, v42 dst_sel:DWORD dst_unused:UNUSED_PAD src0_sel:DWORD src1_sel:BYTE_0
	v_sub_f32_e32 v33, v8, v11
	v_add_f32_e32 v8, v10, v22
	v_fmac_f32_e32 v5, 0xbf5db3d7, v32
	v_fmac_f32_e32 v13, 0x3f5db3d7, v32
	v_add3_u32 v29, 0, v29, v31
	v_add_f32_e32 v40, v47, v48
	v_add_f32_e32 v10, v14, v34
	v_mov_b32_e32 v14, v6
	ds_write2_b64 v29, v[8:9], v[12:13] offset1:39
	ds_write_b64 v29, v[4:5] offset:624
	v_mul_u32_u24_sdwa v4, v45, s2 dst_sel:DWORD dst_unused:UNUSED_PAD src0_sel:WORD_0 src1_sel:DWORD
	v_lshlrev_b32_sdwa v5, v30, v46 dst_sel:DWORD dst_unused:UNUSED_PAD src0_sel:DWORD src1_sel:BYTE_0
	v_add_f32_e32 v38, v0, v47
	v_fma_f32 v0, -0.5, v40, v0
	v_add_f32_e32 v11, v35, v11
	v_fmac_f32_e32 v14, 0xbf5db3d7, v33
	v_add3_u32 v4, 0, v4, v5
	v_fmac_f32_e32 v6, 0x3f5db3d7, v33
	v_mov_b32_e32 v22, v0
	ds_write2_b64 v4, v[10:11], v[14:15] offset1:39
	ds_write_b64 v4, v[6:7] offset:624
	v_mul_u32_u24_e32 v4, 0x3a8, v43
	v_lshlrev_b32_e32 v5, 3, v44
	v_add_f32_e32 v2, v38, v48
	v_fmac_f32_e32 v22, 0xbf5db3d7, v49
	v_add3_u32 v4, 0, v4, v5
	v_fmac_f32_e32 v0, 0x3f5db3d7, v49
	ds_write2_b64 v4, v[2:3], v[22:23] offset1:39
	ds_write_b64 v4, v[0:1] offset:624
	s_and_saveexec_b64 s[2:3], vcc
	s_cbranch_execz .LBB0_23
; %bb.22:
	v_add_u32_e32 v0, 0x15f, v27
	v_mul_u32_u24_sdwa v1, v0, s4 dst_sel:DWORD dst_unused:UNUSED_PAD src0_sel:WORD_0 src1_sel:DWORD
	v_sub_u16_sdwa v2, v0, v1 dst_sel:DWORD dst_unused:UNUSED_PAD src0_sel:DWORD src1_sel:WORD_1
	v_lshrrev_b16_e32 v2, 1, v2
	v_add_u16_sdwa v1, v2, v1 dst_sel:DWORD dst_unused:UNUSED_PAD src0_sel:DWORD src1_sel:WORD_1
	v_lshrrev_b16_e32 v4, 5, v1
	v_mul_lo_u16_e32 v1, 39, v4
	v_sub_u16_e32 v5, v0, v1
	v_lshlrev_b32_e32 v0, 4, v5
	global_load_dwordx4 v[0:3], v0, s[8:9] offset:288
	v_mul_lo_u16_e32 v4, 0x75, v4
	v_lshlrev_b32_e32 v4, 3, v4
	v_lshlrev_b32_e32 v5, 3, v5
	v_add3_u32 v6, 0, v5, v4
	s_waitcnt vmcnt(0)
	v_mul_f32_e32 v4, v18, v1
	v_mul_f32_e32 v5, v16, v3
	;; [unrolled: 1-line block ×4, first 2 shown]
	v_fma_f32 v3, v19, v0, -v4
	v_fma_f32 v4, v17, v2, -v5
	v_fmac_f32_e32 v1, v18, v0
	v_fmac_f32_e32 v7, v16, v2
	v_add_f32_e32 v0, v3, v4
	v_add_f32_e32 v5, v1, v7
	v_sub_f32_e32 v8, v1, v7
	v_add_f32_e32 v2, v21, v3
	v_sub_f32_e32 v9, v3, v4
	v_add_f32_e32 v10, v20, v1
	v_fma_f32 v1, -0.5, v0, v21
	v_fma_f32 v0, -0.5, v5, v20
	v_add_f32_e32 v3, v2, v4
	v_add_f32_e32 v2, v10, v7
	v_mov_b32_e32 v5, v1
	v_fmac_f32_e32 v1, 0x3f5db3d7, v8
	v_mov_b32_e32 v4, v0
	v_fmac_f32_e32 v0, 0xbf5db3d7, v9
	v_fmac_f32_e32 v5, 0xbf5db3d7, v8
	;; [unrolled: 1-line block ×3, first 2 shown]
	ds_write2_b64 v6, v[2:3], v[0:1] offset1:39
	ds_write_b64 v6, v[4:5] offset:624
.LBB0_23:
	s_or_b64 exec, exec, s[2:3]
	s_waitcnt lgkmcnt(0)
	s_barrier
	s_and_saveexec_b64 s[2:3], s[0:1]
	s_cbranch_execz .LBB0_25
; %bb.24:
	v_mul_u32_u24_e32 v0, 10, v27
	v_lshlrev_b32_e32 v20, 3, v0
	global_load_dwordx4 v[0:3], v20, s[8:9] offset:912
	global_load_dwordx4 v[4:7], v20, s[8:9] offset:976
	;; [unrolled: 1-line block ×5, first 2 shown]
	ds_read2_b64 v[20:23], v28 offset1:117
	ds_read_b64 v[43:44], v28 offset:9360
	v_add_u32_e32 v27, 0x400, v28
	v_add_u32_e32 v31, 0x1c00, v28
	;; [unrolled: 1-line block ×4, first 2 shown]
	ds_read2_b64 v[27:30], v27 offset0:106 offset1:223
	ds_read2_b64 v[31:34], v31 offset0:40 offset1:157
	;; [unrolled: 1-line block ×4, first 2 shown]
	s_mov_b32 s0, 0xbf75a155
	s_mov_b32 s1, 0x3f575c64
	;; [unrolled: 1-line block ×5, first 2 shown]
	v_add_co_u32_e32 v24, vcc, s12, v24
	s_waitcnt vmcnt(4) lgkmcnt(5)
	v_mul_f32_e32 v45, v1, v23
	s_waitcnt vmcnt(3) lgkmcnt(4)
	v_mul_f32_e32 v46, v7, v44
	s_waitcnt lgkmcnt(3)
	v_mul_f32_e32 v47, v3, v28
	s_waitcnt lgkmcnt(2)
	v_mul_f32_e32 v48, v5, v34
	s_waitcnt vmcnt(2)
	v_mul_f32_e32 v49, v9, v30
	v_fmac_f32_e32 v45, v0, v22
	v_fmac_f32_e32 v46, v6, v43
	v_mul_f32_e32 v7, v43, v7
	v_mul_f32_e32 v1, v1, v22
	;; [unrolled: 1-line block ×3, first 2 shown]
	s_waitcnt vmcnt(1)
	v_mul_f32_e32 v50, v15, v32
	v_mul_f32_e32 v15, v31, v15
	;; [unrolled: 1-line block ×3, first 2 shown]
	v_fmac_f32_e32 v47, v2, v27
	v_fmac_f32_e32 v48, v4, v33
	v_fmac_f32_e32 v49, v8, v29
	v_sub_f32_e32 v29, v45, v46
	v_mul_f32_e32 v5, v33, v5
	s_waitcnt lgkmcnt(1)
	v_mul_f32_e32 v51, v11, v36
	s_waitcnt lgkmcnt(0)
	v_mul_f32_e32 v52, v13, v42
	v_mul_f32_e32 v13, v41, v13
	;; [unrolled: 1-line block ×3, first 2 shown]
	v_fma_f32 v22, v6, v44, -v7
	v_fma_f32 v23, v0, v23, -v1
	;; [unrolled: 1-line block ×3, first 2 shown]
	v_fmac_f32_e32 v50, v14, v31
	v_fma_f32 v14, v14, v32, -v15
	v_fma_f32 v15, v8, v30, -v9
	v_sub_f32_e32 v30, v47, v48
	v_mul_f32_e32 v2, 0xbe903f40, v29
	s_waitcnt vmcnt(0)
	v_mul_f32_e32 v53, v17, v38
	v_mul_f32_e32 v54, v19, v40
	v_fma_f32 v27, v4, v34, -v5
	v_fmac_f32_e32 v51, v10, v35
	v_fmac_f32_e32 v52, v12, v41
	v_fma_f32 v12, v12, v42, -v13
	v_fma_f32 v13, v10, v36, -v11
	v_add_f32_e32 v10, v23, v22
	v_sub_f32_e32 v31, v49, v50
	v_mul_f32_e32 v3, 0x3f0a6770, v30
	v_mov_b32_e32 v0, v2
	v_mul_f32_e32 v17, v17, v37
	v_fmac_f32_e32 v53, v16, v37
	v_fmac_f32_e32 v54, v18, v39
	v_add_f32_e32 v11, v28, v27
	v_sub_f32_e32 v32, v51, v52
	v_mul_f32_e32 v4, 0xbf4178ce, v31
	v_mov_b32_e32 v1, v3
	v_fmac_f32_e32 v0, 0xbf75a155, v10
	v_mul_f32_e32 v19, v39, v19
	v_fma_f32 v16, v16, v38, -v17
	v_add_f32_e32 v17, v15, v14
	v_sub_f32_e32 v33, v53, v54
	v_mul_f32_e32 v5, 0x3f68dda4, v32
	v_mov_b32_e32 v7, v4
	v_fmac_f32_e32 v1, 0x3f575c64, v11
	v_add_f32_e32 v0, v0, v21
	v_fma_f32 v18, v18, v40, -v19
	v_add_f32_e32 v19, v13, v12
	v_mul_f32_e32 v6, 0xbf7d64f0, v33
	v_mov_b32_e32 v8, v5
	v_fmac_f32_e32 v7, 0xbf27a4f4, v17
	v_add_f32_e32 v0, v0, v1
	v_add_f32_e32 v34, v16, v18
	v_mov_b32_e32 v9, v6
	v_fmac_f32_e32 v8, 0x3ed4b147, v19
	v_add_f32_e32 v0, v0, v7
	v_sub_f32_e32 v36, v23, v22
	v_add_f32_e32 v35, v45, v46
	v_fmac_f32_e32 v9, 0xbe11bafb, v34
	v_add_f32_e32 v0, v0, v8
	v_mul_f32_e32 v7, 0xbe903f40, v36
	v_sub_f32_e32 v38, v28, v27
	v_fma_f32 v2, v10, s0, -v2
	v_add_f32_e32 v1, v0, v9
	v_fma_f32 v0, v35, s0, -v7
	v_add_f32_e32 v37, v47, v48
	v_mul_f32_e32 v8, 0x3f0a6770, v38
	v_add_f32_e32 v2, v2, v21
	v_fma_f32 v3, v11, s1, -v3
	v_add_f32_e32 v0, v0, v20
	v_fma_f32 v9, v37, s1, -v8
	v_sub_f32_e32 v40, v15, v14
	v_add_f32_e32 v2, v2, v3
	v_fma_f32 v3, v17, s2, -v4
	v_add_f32_e32 v0, v0, v9
	v_add_f32_e32 v39, v49, v50
	v_mul_f32_e32 v9, 0xbf4178ce, v40
	v_add_f32_e32 v2, v2, v3
	v_fma_f32 v3, v19, s3, -v5
	v_fma_f32 v41, v39, s2, -v9
	v_sub_f32_e32 v42, v13, v12
	v_add_f32_e32 v2, v2, v3
	v_fma_f32 v3, v34, s4, -v6
	v_fmac_f32_e32 v7, 0xbf75a155, v35
	v_add_f32_e32 v0, v0, v41
	v_add_f32_e32 v41, v51, v52
	v_mul_f32_e32 v43, 0x3f68dda4, v42
	v_add_f32_e32 v3, v2, v3
	v_add_f32_e32 v2, v7, v20
	v_fmac_f32_e32 v8, 0x3f575c64, v37
	v_fma_f32 v44, v41, s3, -v43
	v_sub_f32_e32 v55, v16, v18
	v_add_f32_e32 v2, v2, v8
	v_fmac_f32_e32 v9, 0xbf27a4f4, v39
	v_add_f32_e32 v0, v0, v44
	v_add_f32_e32 v44, v53, v54
	v_mul_f32_e32 v56, 0xbf7d64f0, v55
	v_add_f32_e32 v2, v2, v9
	v_fmac_f32_e32 v43, 0x3ed4b147, v41
	v_fma_f32 v57, v44, s4, -v56
	v_add_f32_e32 v2, v2, v43
	v_fmac_f32_e32 v56, 0xbe11bafb, v44
	v_mul_f32_e32 v43, 0xbf27a4f4, v10
	v_add_f32_e32 v2, v2, v56
	v_mov_b32_e32 v4, v43
	v_mul_f32_e32 v56, 0xbe11bafb, v11
	v_fmac_f32_e32 v4, 0x3f4178ce, v29
	v_mov_b32_e32 v5, v56
	v_add_f32_e32 v0, v0, v57
	v_add_f32_e32 v4, v4, v21
	v_fmac_f32_e32 v5, 0xbf7d64f0, v30
	v_mul_f32_e32 v57, 0x3f575c64, v17
	v_add_f32_e32 v4, v4, v5
	v_mov_b32_e32 v5, v57
	v_fmac_f32_e32 v5, 0x3f0a6770, v31
	v_mul_f32_e32 v58, 0xbf75a155, v19
	v_add_f32_e32 v4, v4, v5
	v_mov_b32_e32 v5, v58
	v_fmac_f32_e32 v5, 0x3e903f40, v32
	v_mul_f32_e32 v59, 0x3ed4b147, v34
	v_add_f32_e32 v4, v4, v5
	v_mov_b32_e32 v5, v59
	v_fmac_f32_e32 v5, 0xbf68dda4, v33
	v_mul_f32_e32 v60, 0xbf4178ce, v36
	v_add_f32_e32 v5, v4, v5
	v_mov_b32_e32 v4, v60
	v_mul_f32_e32 v61, 0x3f7d64f0, v38
	v_fmac_f32_e32 v4, 0xbf27a4f4, v35
	v_mov_b32_e32 v6, v61
	v_add_f32_e32 v4, v4, v20
	v_fmac_f32_e32 v6, 0xbe11bafb, v37
	v_mul_f32_e32 v62, 0xbf0a6770, v40
	v_add_f32_e32 v4, v4, v6
	v_mov_b32_e32 v6, v62
	v_fmac_f32_e32 v6, 0x3f575c64, v39
	v_mul_f32_e32 v63, 0xbe903f40, v42
	v_add_f32_e32 v4, v4, v6
	v_mov_b32_e32 v6, v63
	v_fmac_f32_e32 v6, 0xbf75a155, v41
	v_mul_f32_e32 v64, 0x3f68dda4, v55
	v_add_f32_e32 v4, v4, v6
	v_mov_b32_e32 v6, v64
	v_fmac_f32_e32 v6, 0x3ed4b147, v44
	v_mul_f32_e32 v65, 0xbe11bafb, v10
	v_add_f32_e32 v4, v4, v6
	v_mov_b32_e32 v6, v65
	v_mul_f32_e32 v66, 0xbf75a155, v11
	v_fmac_f32_e32 v6, 0x3f7d64f0, v29
	v_mov_b32_e32 v7, v66
	;; [unrolled: 20-line block ×5, first 2 shown]
	v_add_f32_e32 v8, v8, v20
	v_fmac_f32_e32 v82, 0xbf27a4f4, v37
	v_add_f32_e32 v8, v8, v82
	v_mul_f32_e32 v82, 0x3e903f40, v40
	v_mov_b32_e32 v83, v82
	v_fmac_f32_e32 v83, 0xbf75a155, v39
	v_add_f32_e32 v8, v8, v83
	v_mul_f32_e32 v83, 0x3f7d64f0, v42
	v_mov_b32_e32 v84, v83
	;; [unrolled: 4-line block ×4, first 2 shown]
	v_mul_f32_e32 v86, 0x3ed4b147, v11
	v_fmac_f32_e32 v10, 0x3f0a6770, v29
	v_mov_b32_e32 v11, v86
	v_add_f32_e32 v10, v10, v21
	v_fmac_f32_e32 v11, 0x3f68dda4, v30
	v_mul_f32_e32 v87, 0xbe11bafb, v17
	v_add_f32_e32 v10, v10, v11
	v_mov_b32_e32 v11, v87
	v_fmac_f32_e32 v11, 0x3f7d64f0, v31
	v_mul_f32_e32 v88, 0xbf27a4f4, v19
	v_add_f32_e32 v10, v10, v11
	v_mov_b32_e32 v11, v88
	;; [unrolled: 4-line block ×4, first 2 shown]
	v_mul_f32_e32 v38, 0xbf68dda4, v38
	v_fmac_f32_e32 v10, 0x3f575c64, v35
	v_mov_b32_e32 v17, v38
	v_add_f32_e32 v10, v10, v20
	v_fmac_f32_e32 v17, 0x3ed4b147, v37
	v_mul_f32_e32 v40, 0xbf7d64f0, v40
	v_add_f32_e32 v10, v10, v17
	v_mov_b32_e32 v17, v40
	v_fmac_f32_e32 v17, 0xbe11bafb, v39
	v_mul_f32_e32 v42, 0xbf4178ce, v42
	v_add_f32_e32 v10, v10, v17
	v_mov_b32_e32 v17, v42
	;; [unrolled: 4-line block ×3, first 2 shown]
	v_fmac_f32_e32 v17, 0xbf75a155, v44
	v_add_f32_e32 v10, v10, v17
	v_add_f32_e32 v17, v23, v21
	;; [unrolled: 1-line block ×8, first 2 shown]
	v_fmac_f32_e32 v43, 0xbf4178ce, v29
	v_add_f32_e32 v12, v14, v12
	v_add_f32_e32 v14, v43, v21
	v_fmac_f32_e32 v56, 0x3f7d64f0, v30
	v_add_f32_e32 v14, v14, v56
	v_fmac_f32_e32 v57, 0xbf0a6770, v31
	;; [unrolled: 2-line block ×4, first 2 shown]
	v_add_f32_e32 v15, v14, v59
	v_fma_f32 v14, v35, s2, -v60
	v_add_f32_e32 v14, v14, v20
	v_fma_f32 v16, v37, s4, -v61
	;; [unrolled: 2-line block ×5, first 2 shown]
	v_fmac_f32_e32 v65, 0xbf7d64f0, v29
	v_add_f32_e32 v14, v14, v16
	v_add_f32_e32 v16, v65, v21
	v_fmac_f32_e32 v66, 0x3e903f40, v30
	v_add_f32_e32 v16, v16, v66
	v_fmac_f32_e32 v67, 0x3f68dda4, v31
	;; [unrolled: 2-line block ×4, first 2 shown]
	v_add_f32_e32 v17, v16, v69
	v_fma_f32 v16, v35, s4, -v70
	v_add_f32_e32 v16, v16, v20
	v_fma_f32 v18, v37, s0, -v71
	;; [unrolled: 2-line block ×5, first 2 shown]
	v_fmac_f32_e32 v75, 0xbf68dda4, v29
	v_add_f32_e32 v16, v16, v18
	v_add_f32_e32 v18, v75, v21
	v_fmac_f32_e32 v76, 0xbf4178ce, v30
	v_add_f32_e32 v18, v18, v76
	v_fmac_f32_e32 v77, 0x3e903f40, v31
	;; [unrolled: 2-line block ×4, first 2 shown]
	v_add_f32_e32 v12, v27, v12
	v_add_f32_e32 v19, v18, v79
	v_fma_f32 v18, v35, s3, -v80
	v_add_f32_e32 v13, v22, v12
	v_add_f32_e32 v18, v18, v20
	v_fma_f32 v22, v37, s2, -v81
	v_add_f32_e32 v18, v18, v22
	v_fma_f32 v22, v39, s0, -v82
	v_add_f32_e32 v18, v18, v22
	v_fma_f32 v22, v41, s4, -v83
	v_add_f32_e32 v18, v18, v22
	v_fma_f32 v22, v44, s1, -v84
	v_add_f32_e32 v12, v45, v20
	v_add_f32_e32 v18, v18, v22
	v_fma_f32 v22, v35, s1, -v36
	v_add_f32_e32 v12, v12, v47
	v_add_f32_e32 v20, v22, v20
	v_fma_f32 v22, v37, s3, -v38
	;; [unrolled: 3-line block ×5, first 2 shown]
	v_add_f32_e32 v12, v12, v54
	v_add_f32_e32 v20, v20, v22
	v_mov_b32_e32 v27, 0
	v_mov_b32_e32 v22, s13
	v_add_f32_e32 v12, v52, v12
	v_addc_co_u32_e32 v25, vcc, v22, v25, vcc
	v_lshlrev_b64 v[22:23], 3, v[26:27]
	v_add_f32_e32 v12, v50, v12
	v_add_f32_e32 v12, v48, v12
	v_add_co_u32_e32 v22, vcc, v24, v22
	v_add_f32_e32 v12, v46, v12
	v_fmac_f32_e32 v85, 0xbf0a6770, v29
	v_addc_co_u32_e32 v23, vcc, v25, v23, vcc
	s_movk_i32 s0, 0x1000
	v_add_f32_e32 v21, v85, v21
	v_fmac_f32_e32 v86, 0xbf68dda4, v30
	global_store_dwordx2 v[22:23], v[12:13], off
	global_store_dwordx2 v[22:23], v[10:11], off offset:936
	global_store_dwordx2 v[22:23], v[8:9], off offset:1872
	;; [unrolled: 1-line block ×4, first 2 shown]
	v_add_co_u32_e32 v4, vcc, s0, v22
	v_add_f32_e32 v21, v21, v86
	v_fmac_f32_e32 v87, 0xbf7d64f0, v31
	v_addc_co_u32_e32 v5, vcc, 0, v23, vcc
	v_add_f32_e32 v21, v21, v87
	v_fmac_f32_e32 v88, 0xbf4178ce, v32
	global_store_dwordx2 v[4:5], v[2:3], off offset:584
	global_store_dwordx2 v[4:5], v[0:1], off offset:1520
	;; [unrolled: 1-line block ×4, first 2 shown]
	v_add_co_u32_e32 v0, vcc, 0x2000, v22
	v_add_f32_e32 v21, v21, v88
	v_fmac_f32_e32 v34, 0xbe903f40, v33
	v_addc_co_u32_e32 v1, vcc, 0, v23, vcc
	v_add_f32_e32 v21, v21, v34
	global_store_dwordx2 v[0:1], v[18:19], off offset:232
	global_store_dwordx2 v[0:1], v[20:21], off offset:1168
.LBB0_25:
	s_endpgm
	.section	.rodata,"a",@progbits
	.p2align	6, 0x0
	.amdhsa_kernel fft_rtc_back_len1287_factors_3_13_3_11_wgs_117_tpt_117_sp_ip_CI_unitstride_sbrr_dirReg
		.amdhsa_group_segment_fixed_size 0
		.amdhsa_private_segment_fixed_size 0
		.amdhsa_kernarg_size 88
		.amdhsa_user_sgpr_count 6
		.amdhsa_user_sgpr_private_segment_buffer 1
		.amdhsa_user_sgpr_dispatch_ptr 0
		.amdhsa_user_sgpr_queue_ptr 0
		.amdhsa_user_sgpr_kernarg_segment_ptr 1
		.amdhsa_user_sgpr_dispatch_id 0
		.amdhsa_user_sgpr_flat_scratch_init 0
		.amdhsa_user_sgpr_private_segment_size 0
		.amdhsa_uses_dynamic_stack 0
		.amdhsa_system_sgpr_private_segment_wavefront_offset 0
		.amdhsa_system_sgpr_workgroup_id_x 1
		.amdhsa_system_sgpr_workgroup_id_y 0
		.amdhsa_system_sgpr_workgroup_id_z 0
		.amdhsa_system_sgpr_workgroup_info 0
		.amdhsa_system_vgpr_workitem_id 0
		.amdhsa_next_free_vgpr 127
		.amdhsa_next_free_sgpr 22
		.amdhsa_reserve_vcc 1
		.amdhsa_reserve_flat_scratch 0
		.amdhsa_float_round_mode_32 0
		.amdhsa_float_round_mode_16_64 0
		.amdhsa_float_denorm_mode_32 3
		.amdhsa_float_denorm_mode_16_64 3
		.amdhsa_dx10_clamp 1
		.amdhsa_ieee_mode 1
		.amdhsa_fp16_overflow 0
		.amdhsa_exception_fp_ieee_invalid_op 0
		.amdhsa_exception_fp_denorm_src 0
		.amdhsa_exception_fp_ieee_div_zero 0
		.amdhsa_exception_fp_ieee_overflow 0
		.amdhsa_exception_fp_ieee_underflow 0
		.amdhsa_exception_fp_ieee_inexact 0
		.amdhsa_exception_int_div_zero 0
	.end_amdhsa_kernel
	.text
.Lfunc_end0:
	.size	fft_rtc_back_len1287_factors_3_13_3_11_wgs_117_tpt_117_sp_ip_CI_unitstride_sbrr_dirReg, .Lfunc_end0-fft_rtc_back_len1287_factors_3_13_3_11_wgs_117_tpt_117_sp_ip_CI_unitstride_sbrr_dirReg
                                        ; -- End function
	.section	.AMDGPU.csdata,"",@progbits
; Kernel info:
; codeLenInByte = 8852
; NumSgprs: 26
; NumVgprs: 127
; ScratchSize: 0
; MemoryBound: 0
; FloatMode: 240
; IeeeMode: 1
; LDSByteSize: 0 bytes/workgroup (compile time only)
; SGPRBlocks: 3
; VGPRBlocks: 31
; NumSGPRsForWavesPerEU: 26
; NumVGPRsForWavesPerEU: 127
; Occupancy: 2
; WaveLimiterHint : 1
; COMPUTE_PGM_RSRC2:SCRATCH_EN: 0
; COMPUTE_PGM_RSRC2:USER_SGPR: 6
; COMPUTE_PGM_RSRC2:TRAP_HANDLER: 0
; COMPUTE_PGM_RSRC2:TGID_X_EN: 1
; COMPUTE_PGM_RSRC2:TGID_Y_EN: 0
; COMPUTE_PGM_RSRC2:TGID_Z_EN: 0
; COMPUTE_PGM_RSRC2:TIDIG_COMP_CNT: 0
	.type	__hip_cuid_f77d590eb4a0d449,@object ; @__hip_cuid_f77d590eb4a0d449
	.section	.bss,"aw",@nobits
	.globl	__hip_cuid_f77d590eb4a0d449
__hip_cuid_f77d590eb4a0d449:
	.byte	0                               ; 0x0
	.size	__hip_cuid_f77d590eb4a0d449, 1

	.ident	"AMD clang version 19.0.0git (https://github.com/RadeonOpenCompute/llvm-project roc-6.4.0 25133 c7fe45cf4b819c5991fe208aaa96edf142730f1d)"
	.section	".note.GNU-stack","",@progbits
	.addrsig
	.addrsig_sym __hip_cuid_f77d590eb4a0d449
	.amdgpu_metadata
---
amdhsa.kernels:
  - .args:
      - .actual_access:  read_only
        .address_space:  global
        .offset:         0
        .size:           8
        .value_kind:     global_buffer
      - .offset:         8
        .size:           8
        .value_kind:     by_value
      - .actual_access:  read_only
        .address_space:  global
        .offset:         16
        .size:           8
        .value_kind:     global_buffer
      - .actual_access:  read_only
        .address_space:  global
        .offset:         24
        .size:           8
        .value_kind:     global_buffer
      - .offset:         32
        .size:           8
        .value_kind:     by_value
      - .actual_access:  read_only
        .address_space:  global
        .offset:         40
        .size:           8
        .value_kind:     global_buffer
      - .actual_access:  read_only
        .address_space:  global
        .offset:         48
        .size:           8
        .value_kind:     global_buffer
      - .offset:         56
        .size:           4
        .value_kind:     by_value
      - .actual_access:  read_only
        .address_space:  global
        .offset:         64
        .size:           8
        .value_kind:     global_buffer
      - .actual_access:  read_only
        .address_space:  global
        .offset:         72
        .size:           8
        .value_kind:     global_buffer
      - .address_space:  global
        .offset:         80
        .size:           8
        .value_kind:     global_buffer
    .group_segment_fixed_size: 0
    .kernarg_segment_align: 8
    .kernarg_segment_size: 88
    .language:       OpenCL C
    .language_version:
      - 2
      - 0
    .max_flat_workgroup_size: 117
    .name:           fft_rtc_back_len1287_factors_3_13_3_11_wgs_117_tpt_117_sp_ip_CI_unitstride_sbrr_dirReg
    .private_segment_fixed_size: 0
    .sgpr_count:     26
    .sgpr_spill_count: 0
    .symbol:         fft_rtc_back_len1287_factors_3_13_3_11_wgs_117_tpt_117_sp_ip_CI_unitstride_sbrr_dirReg.kd
    .uniform_work_group_size: 1
    .uses_dynamic_stack: false
    .vgpr_count:     127
    .vgpr_spill_count: 0
    .wavefront_size: 64
amdhsa.target:   amdgcn-amd-amdhsa--gfx906
amdhsa.version:
  - 1
  - 2
...

	.end_amdgpu_metadata
